;; amdgpu-corpus repo=ROCm/rocFFT kind=compiled arch=gfx906 opt=O3
	.text
	.amdgcn_target "amdgcn-amd-amdhsa--gfx906"
	.amdhsa_code_object_version 6
	.protected	fft_rtc_back_len17_factors_17_wgs_120_tpt_1_dp_ip_CI_sbrr_dirReg ; -- Begin function fft_rtc_back_len17_factors_17_wgs_120_tpt_1_dp_ip_CI_sbrr_dirReg
	.globl	fft_rtc_back_len17_factors_17_wgs_120_tpt_1_dp_ip_CI_sbrr_dirReg
	.p2align	8
	.type	fft_rtc_back_len17_factors_17_wgs_120_tpt_1_dp_ip_CI_sbrr_dirReg,@function
fft_rtc_back_len17_factors_17_wgs_120_tpt_1_dp_ip_CI_sbrr_dirReg: ; @fft_rtc_back_len17_factors_17_wgs_120_tpt_1_dp_ip_CI_sbrr_dirReg
; %bb.0:
	s_load_dwordx2 s[10:11], s[4:5], 0x18
	s_load_dwordx2 s[8:9], s[4:5], 0x50
	;; [unrolled: 1-line block ×3, first 2 shown]
	s_mulk_i32 s6, 0x78
	v_add_u32_e32 v4, s6, v0
	s_waitcnt lgkmcnt(0)
	s_load_dwordx2 s[2:3], s[10:11], 0x0
	v_mov_b32_e32 v2, 0
	v_cmp_lt_u64_e64 s[0:1], s[12:13], 2
	v_mov_b32_e32 v0, 0
	v_mov_b32_e32 v5, v2
	s_and_b64 vcc, exec, s[0:1]
	v_mov_b32_e32 v1, 0
	s_cbranch_vccnz .LBB0_8
; %bb.1:
	s_load_dwordx2 s[0:1], s[4:5], 0x10
	s_add_u32 s6, s10, 8
	s_addc_u32 s7, s11, 0
	v_mov_b32_e32 v0, 0
	v_mov_b32_e32 v1, 0
	s_waitcnt lgkmcnt(0)
	s_add_u32 s14, s0, 8
	s_addc_u32 s15, s1, 0
	s_mov_b64 s[16:17], 1
.LBB0_2:                                ; =>This Inner Loop Header: Depth=1
	s_load_dwordx2 s[18:19], s[14:15], 0x0
                                        ; implicit-def: $vgpr6_vgpr7
	s_waitcnt lgkmcnt(0)
	v_or_b32_e32 v3, s19, v5
	v_cmp_ne_u64_e32 vcc, 0, v[2:3]
	s_and_saveexec_b64 s[0:1], vcc
	s_xor_b64 s[20:21], exec, s[0:1]
	s_cbranch_execz .LBB0_4
; %bb.3:                                ;   in Loop: Header=BB0_2 Depth=1
	v_cvt_f32_u32_e32 v3, s18
	v_cvt_f32_u32_e32 v6, s19
	s_sub_u32 s0, 0, s18
	s_subb_u32 s1, 0, s19
	v_mac_f32_e32 v3, 0x4f800000, v6
	v_rcp_f32_e32 v3, v3
	v_mul_f32_e32 v3, 0x5f7ffffc, v3
	v_mul_f32_e32 v6, 0x2f800000, v3
	v_trunc_f32_e32 v6, v6
	v_mac_f32_e32 v3, 0xcf800000, v6
	v_cvt_u32_f32_e32 v6, v6
	v_cvt_u32_f32_e32 v3, v3
	v_mul_lo_u32 v7, s0, v6
	v_mul_hi_u32 v8, s0, v3
	v_mul_lo_u32 v10, s1, v3
	v_mul_lo_u32 v9, s0, v3
	v_add_u32_e32 v7, v8, v7
	v_add_u32_e32 v7, v7, v10
	v_mul_hi_u32 v8, v3, v9
	v_mul_lo_u32 v10, v3, v7
	v_mul_hi_u32 v12, v3, v7
	v_mul_hi_u32 v11, v6, v9
	v_mul_lo_u32 v9, v6, v9
	v_mul_hi_u32 v13, v6, v7
	v_add_co_u32_e32 v8, vcc, v8, v10
	v_addc_co_u32_e32 v10, vcc, 0, v12, vcc
	v_mul_lo_u32 v7, v6, v7
	v_add_co_u32_e32 v8, vcc, v8, v9
	v_addc_co_u32_e32 v8, vcc, v10, v11, vcc
	v_addc_co_u32_e32 v9, vcc, 0, v13, vcc
	v_add_co_u32_e32 v7, vcc, v8, v7
	v_addc_co_u32_e32 v8, vcc, 0, v9, vcc
	v_add_co_u32_e32 v3, vcc, v3, v7
	v_addc_co_u32_e32 v6, vcc, v6, v8, vcc
	v_mul_lo_u32 v7, s0, v6
	v_mul_hi_u32 v8, s0, v3
	v_mul_lo_u32 v9, s1, v3
	v_mul_lo_u32 v10, s0, v3
	v_add_u32_e32 v7, v8, v7
	v_add_u32_e32 v7, v7, v9
	v_mul_lo_u32 v11, v3, v7
	v_mul_hi_u32 v12, v3, v10
	v_mul_hi_u32 v13, v3, v7
	;; [unrolled: 1-line block ×3, first 2 shown]
	v_mul_lo_u32 v10, v6, v10
	v_mul_hi_u32 v8, v6, v7
	v_add_co_u32_e32 v11, vcc, v12, v11
	v_addc_co_u32_e32 v12, vcc, 0, v13, vcc
	v_mul_lo_u32 v7, v6, v7
	v_add_co_u32_e32 v10, vcc, v11, v10
	v_addc_co_u32_e32 v9, vcc, v12, v9, vcc
	v_addc_co_u32_e32 v8, vcc, 0, v8, vcc
	v_add_co_u32_e32 v7, vcc, v9, v7
	v_addc_co_u32_e32 v8, vcc, 0, v8, vcc
	v_add_co_u32_e32 v3, vcc, v3, v7
	v_addc_co_u32_e32 v8, vcc, v6, v8, vcc
	v_mad_u64_u32 v[6:7], s[0:1], v4, v8, 0
	v_mul_hi_u32 v9, v4, v3
	v_add_co_u32_e32 v10, vcc, v9, v6
	v_addc_co_u32_e32 v11, vcc, 0, v7, vcc
	v_mad_u64_u32 v[6:7], s[0:1], v5, v3, 0
	v_mad_u64_u32 v[8:9], s[0:1], v5, v8, 0
	v_add_co_u32_e32 v3, vcc, v10, v6
	v_addc_co_u32_e32 v3, vcc, v11, v7, vcc
	v_addc_co_u32_e32 v6, vcc, 0, v9, vcc
	v_add_co_u32_e32 v3, vcc, v3, v8
	v_addc_co_u32_e32 v8, vcc, 0, v6, vcc
	v_mul_lo_u32 v9, s19, v3
	v_mul_lo_u32 v10, s18, v8
	v_mad_u64_u32 v[6:7], s[0:1], s18, v3, 0
	v_add3_u32 v7, v7, v10, v9
	v_sub_u32_e32 v9, v5, v7
	v_mov_b32_e32 v10, s19
	v_sub_co_u32_e32 v6, vcc, v4, v6
	v_subb_co_u32_e64 v9, s[0:1], v9, v10, vcc
	v_subrev_co_u32_e64 v10, s[0:1], s18, v6
	v_subbrev_co_u32_e64 v9, s[0:1], 0, v9, s[0:1]
	v_cmp_le_u32_e64 s[0:1], s19, v9
	v_cndmask_b32_e64 v11, 0, -1, s[0:1]
	v_cmp_le_u32_e64 s[0:1], s18, v10
	v_cndmask_b32_e64 v10, 0, -1, s[0:1]
	v_cmp_eq_u32_e64 s[0:1], s19, v9
	v_cndmask_b32_e64 v9, v11, v10, s[0:1]
	v_add_co_u32_e64 v10, s[0:1], 2, v3
	v_addc_co_u32_e64 v11, s[0:1], 0, v8, s[0:1]
	v_add_co_u32_e64 v12, s[0:1], 1, v3
	v_addc_co_u32_e64 v13, s[0:1], 0, v8, s[0:1]
	v_subb_co_u32_e32 v7, vcc, v5, v7, vcc
	v_cmp_ne_u32_e64 s[0:1], 0, v9
	v_cmp_le_u32_e32 vcc, s19, v7
	v_cndmask_b32_e64 v9, v13, v11, s[0:1]
	v_cndmask_b32_e64 v11, 0, -1, vcc
	v_cmp_le_u32_e32 vcc, s18, v6
	v_cndmask_b32_e64 v6, 0, -1, vcc
	v_cmp_eq_u32_e32 vcc, s19, v7
	v_cndmask_b32_e32 v6, v11, v6, vcc
	v_cmp_ne_u32_e32 vcc, 0, v6
	v_cndmask_b32_e64 v6, v12, v10, s[0:1]
	v_cndmask_b32_e32 v7, v8, v9, vcc
	v_cndmask_b32_e32 v6, v3, v6, vcc
.LBB0_4:                                ;   in Loop: Header=BB0_2 Depth=1
	s_andn2_saveexec_b64 s[0:1], s[20:21]
	s_cbranch_execz .LBB0_6
; %bb.5:                                ;   in Loop: Header=BB0_2 Depth=1
	v_cvt_f32_u32_e32 v3, s18
	s_sub_i32 s20, 0, s18
	v_rcp_iflag_f32_e32 v3, v3
	v_mul_f32_e32 v3, 0x4f7ffffe, v3
	v_cvt_u32_f32_e32 v3, v3
	v_mul_lo_u32 v6, s20, v3
	v_mul_hi_u32 v6, v3, v6
	v_add_u32_e32 v3, v3, v6
	v_mul_hi_u32 v3, v4, v3
	v_mul_lo_u32 v6, v3, s18
	v_add_u32_e32 v7, 1, v3
	v_sub_u32_e32 v6, v4, v6
	v_subrev_u32_e32 v8, s18, v6
	v_cmp_le_u32_e32 vcc, s18, v6
	v_cndmask_b32_e32 v6, v6, v8, vcc
	v_cndmask_b32_e32 v3, v3, v7, vcc
	v_add_u32_e32 v7, 1, v3
	v_cmp_le_u32_e32 vcc, s18, v6
	v_cndmask_b32_e32 v6, v3, v7, vcc
	v_mov_b32_e32 v7, v2
.LBB0_6:                                ;   in Loop: Header=BB0_2 Depth=1
	s_or_b64 exec, exec, s[0:1]
	v_mul_lo_u32 v3, v7, s18
	v_mul_lo_u32 v10, v6, s19
	v_mad_u64_u32 v[8:9], s[0:1], v6, s18, 0
	s_load_dwordx2 s[0:1], s[6:7], 0x0
	s_add_u32 s16, s16, 1
	v_add3_u32 v3, v9, v10, v3
	v_sub_co_u32_e32 v4, vcc, v4, v8
	v_subb_co_u32_e32 v3, vcc, v5, v3, vcc
	s_waitcnt lgkmcnt(0)
	v_mul_lo_u32 v3, s0, v3
	v_mul_lo_u32 v5, s1, v4
	v_mad_u64_u32 v[0:1], s[0:1], s0, v4, v[0:1]
	s_addc_u32 s17, s17, 0
	s_add_u32 s6, s6, 8
	v_add3_u32 v1, v5, v1, v3
	v_mov_b32_e32 v3, s12
	v_mov_b32_e32 v4, s13
	s_addc_u32 s7, s7, 0
	v_cmp_ge_u64_e32 vcc, s[16:17], v[3:4]
	s_add_u32 s14, s14, 8
	s_addc_u32 s15, s15, 0
	s_cbranch_vccnz .LBB0_9
; %bb.7:                                ;   in Loop: Header=BB0_2 Depth=1
	v_mov_b32_e32 v4, v6
	v_mov_b32_e32 v5, v7
	s_branch .LBB0_2
.LBB0_8:
	v_mov_b32_e32 v7, v5
	v_mov_b32_e32 v6, v4
.LBB0_9:
	s_lshl_b64 s[0:1], s[12:13], 3
	s_add_u32 s0, s10, s0
	s_addc_u32 s1, s11, s1
	s_load_dwordx2 s[6:7], s[0:1], 0x0
	s_load_dwordx2 s[10:11], s[4:5], 0x20
	s_waitcnt lgkmcnt(0)
	s_mul_i32 s62, s3, 0x50
	s_mul_i32 s60, s3, 0x60
	;; [unrolled: 1-line block ×3, first 2 shown]
	v_mul_lo_u32 v2, s6, v7
	v_mul_lo_u32 v3, s7, v6
	v_mad_u64_u32 v[0:1], s[0:1], s6, v6, v[0:1]
	v_cmp_gt_u64_e32 vcc, s[10:11], v[6:7]
	s_mul_i32 s59, s3, 0x90
	v_add3_u32 v1, v3, v1, v2
	v_lshlrev_b64 v[76:77], 4, v[0:1]
	s_mul_i32 s58, s3, 0xa0
	s_mul_i32 s57, s3, 0xb0
	;; [unrolled: 1-line block ×6, first 2 shown]
                                        ; implicit-def: $vgpr6_vgpr7
                                        ; implicit-def: $vgpr2_vgpr3
                                        ; implicit-def: $vgpr10_vgpr11
                                        ; implicit-def: $vgpr18_vgpr19
                                        ; implicit-def: $vgpr22_vgpr23
                                        ; implicit-def: $vgpr26_vgpr27
                                        ; implicit-def: $vgpr30_vgpr31
                                        ; implicit-def: $vgpr34_vgpr35
                                        ; implicit-def: $vgpr38_vgpr39
                                        ; implicit-def: $vgpr42_vgpr43
                                        ; implicit-def: $vgpr46_vgpr47
                                        ; implicit-def: $vgpr50_vgpr51
                                        ; implicit-def: $vgpr58_vgpr59
                                        ; implicit-def: $vgpr66_vgpr67
                                        ; implicit-def: $vgpr70_vgpr71
                                        ; implicit-def: $vgpr74_vgpr75
                                        ; implicit-def: $vgpr14_vgpr15
	s_and_saveexec_b64 s[4:5], vcc
	s_cbranch_execnz .LBB0_12
; %bb.10:
	s_or_b64 exec, exec, s[4:5]
	s_and_saveexec_b64 s[0:1], vcc
	s_cbranch_execnz .LBB0_13
.LBB0_11:
	s_endpgm
.LBB0_12:
	v_mov_b32_e32 v0, s9
	v_add_co_u32_e64 v4, s[0:1], s8, v76
	v_addc_co_u32_e64 v5, s[0:1], v0, v77, s[0:1]
	v_mad_u64_u32 v[6:7], s[6:7], s2, 48, v[4:5]
	s_lshl_b64 s[0:1], s[2:3], 4
	v_mov_b32_e32 v0, s1
	v_add_co_u32_e64 v36, s[0:1], s0, v4
	v_addc_co_u32_e64 v37, s[0:1], v5, v0, s[0:1]
	v_mov_b32_e32 v0, v7
	s_lshl_b64 s[0:1], s[2:3], 5
	v_mad_u64_u32 v[0:1], s[6:7], s3, 48, v[0:1]
	v_mov_b32_e32 v2, s1
	v_add_co_u32_e64 v38, s[0:1], s0, v4
	v_addc_co_u32_e64 v39, s[0:1], v5, v2, s[0:1]
	s_lshl_b64 s[0:1], s[2:3], 6
	v_mov_b32_e32 v7, v0
	v_mov_b32_e32 v0, s1
	v_add_co_u32_e64 v62, s[0:1], s0, v4
	v_addc_co_u32_e64 v63, s[0:1], v5, v0, s[0:1]
	s_lshl_b64 s[0:1], s[2:3], 7
	v_mov_b32_e32 v0, s1
	v_add_co_u32_e64 v80, s[0:1], s0, v4
	v_addc_co_u32_e64 v81, s[0:1], v5, v0, s[0:1]
	v_mov_b32_e32 v0, 0xa0
	v_mov_b32_e32 v1, 0x50
	v_mad_u64_u32 v[82:83], s[0:1], s2, v0, v[4:5]
	v_mov_b32_e32 v0, 0xb0
	v_mad_u64_u32 v[52:53], s[6:7], s2, v1, v[4:5]
	;; [unrolled: 2-line block ×5, first 2 shown]
	v_mad_u64_u32 v[60:61], s[6:7], s2, v1, v[4:5]
	v_mov_b32_e32 v1, 0x90
	s_lshl_b64 s[0:1], s[2:3], 8
	v_mad_u64_u32 v[78:79], s[6:7], s2, v1, v[4:5]
	v_mov_b32_e32 v0, 0xd0
	v_mov_b32_e32 v1, s1
	v_add_co_u32_e64 v88, s[0:1], s0, v4
	v_addc_co_u32_e64 v89, s[0:1], v5, v1, s[0:1]
	v_mad_u64_u32 v[90:91], s[0:1], s2, v0, v[4:5]
	v_mov_b32_e32 v0, 0xe0
	v_mad_u64_u32 v[92:93], s[0:1], s2, v0, v[4:5]
	v_mov_b32_e32 v0, 0xf0
	v_mad_u64_u32 v[94:95], s[0:1], s2, v0, v[4:5]
	v_add_u32_e32 v53, s62, v53
	v_add_u32_e32 v55, s60, v55
	;; [unrolled: 1-line block ×10, first 2 shown]
	global_load_dwordx4 v[12:15], v[4:5], off
	global_load_dwordx4 v[72:75], v[36:37], off
	;; [unrolled: 1-line block ×15, first 2 shown]
                                        ; kill: killed $vgpr82 killed $vgpr83
                                        ; kill: killed $vgpr6 killed $vgpr7
                                        ; kill: killed $vgpr4 killed $vgpr5
                                        ; kill: killed $vgpr90 killed $vgpr91
                                        ; kill: killed $vgpr78 killed $vgpr79
                                        ; kill: killed $vgpr60 killed $vgpr61
                                        ; kill: killed $vgpr86 killed $vgpr87
                                        ; kill: killed $vgpr38 killed $vgpr39
                                        ; kill: killed $vgpr54 killed $vgpr55
                                        ; kill: killed $vgpr94 killed $vgpr95
                                        ; kill: killed $vgpr84 killed $vgpr85
                                        ; kill: killed $vgpr52 killed $vgpr53
                                        ; kill: killed $vgpr62 killed $vgpr63
                                        ; kill: killed $vgpr36 killed $vgpr37
                                        ; kill: killed $vgpr92 killed $vgpr93
	global_load_dwordx4 v[36:39], v[80:81], off
	global_load_dwordx4 v[4:7], v[88:89], off
	s_or_b64 exec, exec, s[4:5]
	s_and_saveexec_b64 s[0:1], vcc
	s_cbranch_execz .LBB0_11
.LBB0_13:
	s_waitcnt vmcnt(0)
	v_add_f64 v[92:93], v[72:73], -v[4:5]
	s_mov_b32 s0, 0xacd6c6b4
	s_mov_b32 s1, 0xbfc7851a
	v_add_f64 v[90:91], v[6:7], v[74:75]
	v_add_f64 v[86:87], v[68:69], -v[0:1]
	s_mov_b32 s4, 0x7faef3
	s_mov_b32 s6, 0x5d8e7cdc
	;; [unrolled: 1-line block ×3, first 2 shown]
	v_mul_f64 v[132:133], v[92:93], s[0:1]
	s_mov_b32 s7, 0x3fd71e95
	v_add_f64 v[78:79], v[2:3], v[70:71]
	v_add_f64 v[88:89], v[64:65], -v[8:9]
	v_mul_f64 v[136:137], v[86:87], s[6:7]
	v_add_f64 v[134:135], v[4:5], v[72:73]
	s_mov_b32 s12, 0x370991
	s_mov_b32 s10, 0x4363dd80
	v_fma_f64 v[52:53], v[90:91], s[4:5], v[132:133]
	s_mov_b32 s13, 0x3fedd6d0
	s_mov_b32 s11, 0xbfe0d888
	v_add_f64 v[80:81], v[10:11], v[66:67]
	v_mul_f64 v[138:139], v[88:89], s[10:11]
	v_fma_f64 v[54:55], v[78:79], s[12:13], v[136:137]
	v_add_f64 v[130:131], v[74:75], -v[6:7]
	v_mul_f64 v[140:141], v[134:135], s[4:5]
	v_add_f64 v[60:61], v[14:15], v[52:53]
	v_add_f64 v[118:119], v[0:1], v[68:69]
	s_mov_b32 s14, 0x910ea3b9
	s_mov_b32 s15, 0xbfeb34fa
	;; [unrolled: 1-line block ×4, first 2 shown]
	v_add_f64 v[84:85], v[56:57], -v[16:17]
	v_fma_f64 v[96:97], v[80:81], s[14:15], v[138:139]
	v_add_f64 v[54:55], v[54:55], v[60:61]
	v_fma_f64 v[60:61], v[130:131], s[18:19], v[140:141]
	v_mul_f64 v[150:151], v[118:119], s[12:13]
	v_add_f64 v[98:99], v[70:71], -v[2:3]
	v_add_f64 v[122:123], v[8:9], v[64:65]
	s_mov_b32 s16, 0x2a9d6da3
	s_mov_b32 s17, 0x3fe58eea
	;; [unrolled: 1-line block ×4, first 2 shown]
	v_add_f64 v[82:83], v[18:19], v[58:59]
	v_add_f64 v[106:107], v[48:49], -v[20:21]
	v_mul_f64 v[52:53], v[84:85], s[16:17]
	v_add_f64 v[108:109], v[96:97], v[54:55]
	v_add_f64 v[54:55], v[12:13], v[60:61]
	v_fma_f64 v[60:61], v[98:99], s[46:47], v[150:151]
	v_mul_f64 v[158:159], v[122:123], s[14:15]
	v_add_f64 v[102:103], v[66:67], -v[10:11]
	v_add_f64 v[120:121], v[16:17], v[56:57]
	s_mov_b32 s24, 0x75d4884
	s_mov_b32 s20, 0x6c9a05f6
	;; [unrolled: 1-line block ×6, first 2 shown]
	v_add_f64 v[94:95], v[22:23], v[50:51]
	v_mul_f64 v[62:63], v[106:107], s[20:21]
	v_fma_f64 v[104:105], v[82:83], s[24:25], v[52:53]
	v_add_f64 v[112:113], v[60:61], v[54:55]
	v_fma_f64 v[114:115], v[102:103], s[26:27], v[158:159]
	v_mul_f64 v[54:55], v[120:121], s[24:25]
	v_add_f64 v[100:101], v[58:59], -v[18:19]
	v_add_f64 v[124:125], v[20:21], v[48:49]
	s_mov_b32 s22, 0x6ed5f1bb
	s_mov_b32 s23, 0xbfe348c8
	;; [unrolled: 1-line block ×4, first 2 shown]
	v_add_f64 v[110:111], v[44:45], -v[24:25]
	v_fma_f64 v[126:127], v[94:95], s[22:23], v[62:63]
	v_add_f64 v[144:145], v[104:105], v[108:109]
	v_add_f64 v[104:105], v[114:115], v[112:113]
	v_fma_f64 v[112:113], v[100:101], s[40:41], v[54:55]
	v_mul_f64 v[142:143], v[124:125], s[22:23]
	v_add_f64 v[108:109], v[50:51], -v[22:23]
	v_add_f64 v[128:129], v[24:25], v[44:45]
	s_mov_b32 s30, 0x7c9e640b
	s_mov_b32 s34, 0x2b2883cd
	;; [unrolled: 1-line block ×6, first 2 shown]
	v_add_f64 v[96:97], v[26:27], v[46:47]
	v_mul_f64 v[60:61], v[110:111], s[30:31]
	v_add_f64 v[116:117], v[40:41], -v[28:29]
	v_add_f64 v[114:115], v[112:113], v[104:105]
	v_fma_f64 v[148:149], v[108:109], s[36:37], v[142:143]
	v_mul_f64 v[146:147], v[128:129], s[34:35]
	v_add_f64 v[112:113], v[46:47], -v[26:27]
	v_add_f64 v[154:155], v[126:127], v[144:145]
	v_add_f64 v[126:127], v[28:29], v[40:41]
	s_mov_b32 s28, 0x923c349f
	s_mov_b32 s38, 0xc61f0d01
	;; [unrolled: 1-line block ×6, first 2 shown]
	v_add_f64 v[104:105], v[30:31], v[42:43]
	v_fma_f64 v[152:153], v[96:97], s[34:35], v[60:61]
	v_mul_f64 v[144:145], v[116:117], s[28:29]
	v_add_f64 v[156:157], v[148:149], v[114:115]
	v_fma_f64 v[160:161], v[112:113], s[42:43], v[146:147]
	v_mul_f64 v[148:149], v[126:127], s[38:39]
	v_add_f64 v[114:115], v[42:43], -v[30:31]
	s_mov_b32 s45, 0x3feec746
	s_mov_b32 s44, s28
	v_add_f64 v[152:153], v[152:153], v[154:155]
	v_fma_f64 v[154:155], v[104:105], s[38:39], v[144:145]
	v_fma_f64 v[164:165], v[90:91], s[4:5], -v[132:133]
	v_add_f64 v[160:161], v[160:161], v[156:157]
	v_add_f64 v[132:133], v[36:37], -v[32:33]
	v_fma_f64 v[162:163], v[114:115], s[44:45], v[148:149]
	s_mov_b32 s52, 0xeb564b22
	s_mov_b32 s48, 0x3259b75e
	;; [unrolled: 1-line block ×3, first 2 shown]
	v_add_f64 v[156:157], v[154:155], v[152:153]
	v_add_f64 v[164:165], v[14:15], v[164:165]
	s_mov_b32 s49, 0x3fb79ee6
	v_mul_f64 v[152:153], v[132:133], s[52:53]
	v_add_f64 v[154:155], v[162:163], v[160:161]
	v_fma_f64 v[160:161], v[130:131], s[0:1], v[140:141]
	v_fma_f64 v[162:163], v[78:79], s[12:13], -v[136:137]
	v_add_f64 v[140:141], v[32:33], v[36:37]
	v_fma_f64 v[166:167], v[98:99], s[6:7], v[150:151]
	v_add_f64 v[136:137], v[34:35], v[38:39]
	s_mov_b32 s51, 0xbfefdd0d
	s_mov_b32 s50, s52
	v_fma_f64 v[52:53], v[82:83], s[24:25], -v[52:53]
	v_add_f64 v[168:169], v[12:13], v[160:161]
	v_add_f64 v[160:161], v[162:163], v[164:165]
	v_fma_f64 v[164:165], v[80:81], s[14:15], -v[138:139]
	v_mul_f64 v[150:151], v[140:141], s[48:49]
	v_add_f64 v[138:139], v[38:39], -v[34:35]
	v_fma_f64 v[62:63], v[94:95], s[22:23], -v[62:63]
	v_fma_f64 v[142:143], v[108:109], s[20:21], v[142:143]
	v_fma_f64 v[60:61], v[96:97], s[34:35], -v[60:61]
	v_add_f64 v[162:163], v[166:167], v[168:169]
	v_fma_f64 v[166:167], v[102:103], s[10:11], v[158:159]
	v_fma_f64 v[158:159], v[136:137], s[48:49], v[152:153]
	v_mul_f64 v[168:169], v[92:93], s[10:11]
	v_add_f64 v[160:161], v[164:165], v[160:161]
	v_fma_f64 v[164:165], v[138:139], s[50:51], v[150:151]
	v_mul_f64 v[170:171], v[118:119], s[34:35]
	v_fma_f64 v[146:147], v[112:113], s[30:31], v[146:147]
	v_mul_f64 v[172:173], v[122:123], s[48:49]
	v_add_f64 v[162:163], v[166:167], v[162:163]
	v_fma_f64 v[166:167], v[100:101], s[16:17], v[54:55]
	v_add_f64 v[54:55], v[158:159], v[156:157]
	v_fma_f64 v[156:157], v[90:91], s[14:15], v[168:169]
	v_mul_f64 v[158:159], v[86:87], s[30:31]
	v_add_f64 v[160:161], v[52:53], v[160:161]
	v_add_f64 v[52:53], v[164:165], v[154:155]
	v_mul_f64 v[154:155], v[134:135], s[14:15]
	v_fma_f64 v[144:145], v[104:105], s[38:39], -v[144:145]
	v_add_f64 v[162:163], v[166:167], v[162:163]
	v_mul_f64 v[166:167], v[88:89], s[50:51]
	v_add_f64 v[156:157], v[14:15], v[156:157]
	v_fma_f64 v[164:165], v[78:79], s[34:35], v[158:159]
	v_add_f64 v[62:63], v[62:63], v[160:161]
	v_fma_f64 v[148:149], v[114:115], s[28:29], v[148:149]
	v_fma_f64 v[160:161], v[130:131], s[26:27], v[154:155]
	v_mul_f64 v[174:175], v[120:121], s[22:23]
	v_add_f64 v[142:143], v[142:143], v[162:163]
	v_fma_f64 v[162:163], v[80:81], s[48:49], v[166:167]
	v_mul_f64 v[176:177], v[124:125], s[12:13]
	v_add_f64 v[156:157], v[164:165], v[156:157]
	v_mul_f64 v[164:165], v[84:85], s[36:37]
	v_add_f64 v[60:61], v[60:61], v[62:63]
	v_add_f64 v[62:63], v[12:13], v[160:161]
	v_fma_f64 v[160:161], v[98:99], s[42:43], v[170:171]
	v_add_f64 v[142:143], v[146:147], v[142:143]
	v_fma_f64 v[150:151], v[138:139], s[52:53], v[150:151]
	v_mul_f64 v[178:179], v[128:129], s[4:5]
	v_add_f64 v[146:147], v[162:163], v[156:157]
	v_fma_f64 v[156:157], v[82:83], s[22:23], v[164:165]
	v_mul_f64 v[162:163], v[106:107], s[46:47]
	v_add_f64 v[60:61], v[144:145], v[60:61]
	v_add_f64 v[62:63], v[160:161], v[62:63]
	v_fma_f64 v[160:161], v[102:103], s[52:53], v[172:173]
	v_fma_f64 v[144:145], v[136:137], s[48:49], -v[152:153]
	v_add_f64 v[142:143], v[148:149], v[142:143]
	v_add_f64 v[74:75], v[74:75], v[14:15]
	v_add_f64 v[146:147], v[156:157], v[146:147]
	v_fma_f64 v[152:153], v[94:95], s[12:13], v[162:163]
	v_mul_f64 v[156:157], v[110:111], s[0:1]
	v_add_f64 v[72:73], v[72:73], v[12:13]
	v_add_f64 v[148:149], v[160:161], v[62:63]
	v_fma_f64 v[160:161], v[100:101], s[20:21], v[174:175]
	v_add_f64 v[62:63], v[144:145], v[60:61]
	v_add_f64 v[60:61], v[150:151], v[142:143]
	v_fma_f64 v[142:143], v[78:79], s[34:35], -v[158:159]
	v_add_f64 v[144:145], v[152:153], v[146:147]
	v_fma_f64 v[146:147], v[96:97], s[4:5], v[156:157]
	v_fma_f64 v[152:153], v[90:91], s[14:15], -v[168:169]
	v_mul_f64 v[168:169], v[116:117], s[16:17]
	v_add_f64 v[148:149], v[160:161], v[148:149]
	v_fma_f64 v[160:161], v[108:109], s[6:7], v[176:177]
	v_mul_f64 v[158:159], v[126:127], s[24:25]
	v_add_f64 v[74:75], v[70:71], v[74:75]
	v_add_f64 v[72:73], v[68:69], v[72:73]
	;; [unrolled: 1-line block ×4, first 2 shown]
	v_fma_f64 v[146:147], v[104:105], s[24:25], v[168:169]
	v_fma_f64 v[152:153], v[112:113], s[18:19], v[178:179]
	v_add_f64 v[148:149], v[160:161], v[148:149]
	v_mul_f64 v[160:161], v[132:133], s[28:29]
	v_fma_f64 v[68:69], v[98:99], s[30:31], v[170:171]
	v_add_f64 v[74:75], v[66:67], v[74:75]
	v_mul_f64 v[170:171], v[88:89], s[46:47]
	v_add_f64 v[142:143], v[142:143], v[150:151]
	v_fma_f64 v[150:151], v[80:81], s[48:49], -v[166:167]
	v_add_f64 v[70:71], v[146:147], v[144:145]
	v_add_f64 v[144:145], v[152:153], v[148:149]
	v_fma_f64 v[146:147], v[130:131], s[10:11], v[154:155]
	v_fma_f64 v[148:149], v[114:115], s[40:41], v[158:159]
	v_mul_f64 v[152:153], v[140:141], s[38:39]
	v_fma_f64 v[154:155], v[136:137], s[38:39], v[160:161]
	v_fma_f64 v[156:157], v[96:97], s[4:5], -v[156:157]
	v_add_f64 v[142:143], v[150:151], v[142:143]
	v_fma_f64 v[150:151], v[82:83], s[22:23], -v[164:165]
	v_mul_f64 v[164:165], v[92:93], s[20:21]
	v_add_f64 v[146:147], v[12:13], v[146:147]
	v_add_f64 v[144:145], v[148:149], v[144:145]
	v_fma_f64 v[148:149], v[138:139], s[44:45], v[152:153]
	v_add_f64 v[70:71], v[154:155], v[70:71]
	v_mul_f64 v[154:155], v[134:135], s[22:23]
	v_mul_f64 v[180:181], v[124:125], s[48:49]
	v_add_f64 v[142:143], v[150:151], v[142:143]
	v_fma_f64 v[150:151], v[94:95], s[12:13], -v[162:163]
	v_add_f64 v[146:147], v[68:69], v[146:147]
	v_fma_f64 v[162:163], v[102:103], s[50:51], v[172:173]
	v_add_f64 v[68:69], v[148:149], v[144:145]
	v_fma_f64 v[144:145], v[90:91], s[22:23], v[164:165]
	v_mul_f64 v[148:149], v[86:87], s[44:45]
	v_fma_f64 v[158:159], v[114:115], s[16:17], v[158:159]
	v_fma_f64 v[168:169], v[104:105], s[24:25], -v[168:169]
	v_add_f64 v[66:67], v[150:151], v[142:143]
	v_fma_f64 v[142:143], v[130:131], s[36:37], v[154:155]
	v_mul_f64 v[150:151], v[118:119], s[38:39]
	v_add_f64 v[146:147], v[162:163], v[146:147]
	v_fma_f64 v[162:163], v[100:101], s[36:37], v[174:175]
	v_add_f64 v[144:145], v[14:15], v[144:145]
	v_fma_f64 v[166:167], v[78:79], s[38:39], v[148:149]
	v_mul_f64 v[174:175], v[122:123], s[12:13]
	v_add_f64 v[66:67], v[156:157], v[66:67]
	v_add_f64 v[142:143], v[12:13], v[142:143]
	v_fma_f64 v[172:173], v[98:99], s[28:29], v[150:151]
	v_add_f64 v[72:73], v[64:65], v[72:73]
	v_add_f64 v[146:147], v[162:163], v[146:147]
	v_fma_f64 v[162:163], v[108:109], s[46:47], v[176:177]
	v_add_f64 v[144:145], v[166:167], v[144:145]
	v_fma_f64 v[166:167], v[80:81], s[12:13], v[170:171]
	v_mul_f64 v[176:177], v[84:85], s[10:11]
	v_fma_f64 v[156:157], v[102:103], s[6:7], v[174:175]
	v_add_f64 v[142:143], v[172:173], v[142:143]
	v_mul_f64 v[172:173], v[120:121], s[14:15]
	v_add_f64 v[66:67], v[168:169], v[66:67]
	v_add_f64 v[146:147], v[162:163], v[146:147]
	v_fma_f64 v[162:163], v[112:113], s[0:1], v[178:179]
	v_add_f64 v[144:145], v[166:167], v[144:145]
	v_fma_f64 v[166:167], v[82:83], s[14:15], v[176:177]
	v_mul_f64 v[178:179], v[106:107], s[52:53]
	v_add_f64 v[142:143], v[156:157], v[142:143]
	v_fma_f64 v[156:157], v[100:101], s[26:27], v[172:173]
	v_mul_f64 v[168:169], v[126:127], s[4:5]
	v_fma_f64 v[148:149], v[78:79], s[38:39], -v[148:149]
	v_add_f64 v[146:147], v[162:163], v[146:147]
	v_fma_f64 v[152:153], v[138:139], s[28:29], v[152:153]
	v_add_f64 v[144:145], v[166:167], v[144:145]
	v_fma_f64 v[162:163], v[94:95], s[48:49], v[178:179]
	v_mul_f64 v[166:167], v[110:111], s[40:41]
	v_add_f64 v[64:65], v[156:157], v[142:143]
	v_fma_f64 v[142:143], v[108:109], s[50:51], v[180:181]
	v_mul_f64 v[156:157], v[128:129], s[24:25]
	v_add_f64 v[146:147], v[158:159], v[146:147]
	v_fma_f64 v[158:159], v[90:91], s[22:23], -v[164:165]
	v_mul_f64 v[164:165], v[116:117], s[0:1]
	v_add_f64 v[144:145], v[162:163], v[144:145]
	v_fma_f64 v[162:163], v[96:97], s[24:25], v[166:167]
	v_mul_f64 v[184:185], v[132:133], s[30:31]
	v_add_f64 v[64:65], v[142:143], v[64:65]
	v_fma_f64 v[142:143], v[112:113], s[16:17], v[156:157]
	v_fma_f64 v[182:183], v[114:115], s[18:19], v[168:169]
	v_add_f64 v[158:159], v[14:15], v[158:159]
	v_mul_f64 v[186:187], v[140:141], s[34:35]
	v_add_f64 v[74:75], v[58:59], v[74:75]
	v_add_f64 v[144:145], v[162:163], v[144:145]
	v_fma_f64 v[162:163], v[104:105], s[4:5], v[164:165]
	v_fma_f64 v[150:151], v[98:99], s[44:45], v[150:151]
	v_add_f64 v[142:143], v[142:143], v[64:65]
	v_add_f64 v[64:65], v[152:153], v[146:147]
	v_add_f64 v[148:149], v[148:149], v[158:159]
	v_fma_f64 v[158:159], v[80:81], s[12:13], -v[170:171]
	v_fma_f64 v[146:147], v[130:131], s[20:21], v[154:155]
	v_fma_f64 v[152:153], v[136:137], s[34:35], v[184:185]
	v_add_f64 v[144:145], v[162:163], v[144:145]
	v_fma_f64 v[154:155], v[138:139], s[42:43], v[186:187]
	v_add_f64 v[142:143], v[182:183], v[142:143]
	v_fma_f64 v[160:161], v[136:137], s[38:39], -v[160:161]
	v_add_f64 v[72:73], v[56:57], v[72:73]
	v_add_f64 v[148:149], v[158:159], v[148:149]
	v_fma_f64 v[158:159], v[82:83], s[14:15], -v[176:177]
	v_add_f64 v[146:147], v[12:13], v[146:147]
	v_add_f64 v[58:59], v[152:153], v[144:145]
	v_mul_f64 v[144:145], v[92:93], s[28:29]
	v_add_f64 v[56:57], v[154:155], v[142:143]
	v_fma_f64 v[152:153], v[94:95], s[48:49], -v[178:179]
	v_add_f64 v[74:75], v[50:51], v[74:75]
	v_mul_f64 v[154:155], v[86:87], s[26:27]
	v_add_f64 v[142:143], v[158:159], v[148:149]
	v_mul_f64 v[148:149], v[134:135], s[38:39]
	v_add_f64 v[146:147], v[150:151], v[146:147]
	v_fma_f64 v[150:151], v[102:103], s[46:47], v[174:175]
	v_fma_f64 v[50:51], v[90:91], s[38:39], v[144:145]
	v_add_f64 v[66:67], v[160:161], v[66:67]
	v_add_f64 v[72:73], v[48:49], v[72:73]
	v_mul_f64 v[158:159], v[118:119], s[14:15]
	v_add_f64 v[142:143], v[152:153], v[142:143]
	v_fma_f64 v[48:49], v[130:131], s[44:45], v[148:149]
	v_fma_f64 v[152:153], v[78:79], s[14:15], v[154:155]
	v_add_f64 v[146:147], v[150:151], v[146:147]
	v_fma_f64 v[150:151], v[100:101], s[10:11], v[172:173]
	v_add_f64 v[50:51], v[14:15], v[50:51]
	v_mul_f64 v[160:161], v[88:89], s[16:17]
	v_fma_f64 v[162:163], v[98:99], s[10:11], v[158:159]
	v_mul_f64 v[170:171], v[122:123], s[24:25]
	v_add_f64 v[48:49], v[12:13], v[48:49]
	v_mul_f64 v[172:173], v[84:85], s[42:43]
	v_fma_f64 v[166:167], v[96:97], s[24:25], -v[166:167]
	v_add_f64 v[146:147], v[150:151], v[146:147]
	v_fma_f64 v[150:151], v[108:109], s[52:53], v[180:181]
	v_add_f64 v[50:51], v[152:153], v[50:51]
	v_fma_f64 v[152:153], v[80:81], s[24:25], v[160:161]
	v_mul_f64 v[174:175], v[120:121], s[34:35]
	v_add_f64 v[48:49], v[162:163], v[48:49]
	v_fma_f64 v[162:163], v[102:103], s[40:41], v[170:171]
	v_add_f64 v[142:143], v[166:167], v[142:143]
	v_mul_f64 v[166:167], v[124:125], s[4:5]
	v_add_f64 v[146:147], v[150:151], v[146:147]
	v_fma_f64 v[150:151], v[112:113], s[40:41], v[156:157]
	v_add_f64 v[50:51], v[152:153], v[50:51]
	v_fma_f64 v[152:153], v[82:83], s[34:35], v[172:173]
	v_mul_f64 v[156:157], v[106:107], s[0:1]
	v_add_f64 v[48:49], v[162:163], v[48:49]
	v_fma_f64 v[162:163], v[100:101], s[30:31], v[174:175]
	v_fma_f64 v[164:165], v[104:105], s[4:5], -v[164:165]
	v_mul_f64 v[176:177], v[128:129], s[48:49]
	v_add_f64 v[146:147], v[150:151], v[146:147]
	v_fma_f64 v[150:151], v[114:115], s[0:1], v[168:169]
	v_add_f64 v[50:51], v[152:153], v[50:51]
	v_fma_f64 v[152:153], v[94:95], s[4:5], v[156:157]
	v_mul_f64 v[168:169], v[110:111], s[52:53]
	v_add_f64 v[48:49], v[162:163], v[48:49]
	v_fma_f64 v[162:163], v[108:109], s[18:19], v[166:167]
	v_add_f64 v[142:143], v[164:165], v[142:143]
	v_mul_f64 v[178:179], v[116:117], s[46:47]
	v_add_f64 v[146:147], v[150:151], v[146:147]
	v_fma_f64 v[150:151], v[136:137], s[34:35], -v[184:185]
	v_add_f64 v[152:153], v[152:153], v[50:51]
	v_fma_f64 v[164:165], v[96:97], s[48:49], v[168:169]
	v_fma_f64 v[144:145], v[90:91], s[38:39], -v[144:145]
	v_add_f64 v[48:49], v[162:163], v[48:49]
	v_fma_f64 v[162:163], v[112:113], s[50:51], v[176:177]
	v_mul_f64 v[180:181], v[126:127], s[12:13]
	v_fma_f64 v[148:149], v[130:131], s[28:29], v[148:149]
	v_add_f64 v[50:51], v[150:151], v[142:143]
	v_fma_f64 v[150:151], v[104:105], s[12:13], v[178:179]
	v_add_f64 v[142:143], v[164:165], v[152:153]
	v_fma_f64 v[154:155], v[78:79], s[14:15], -v[154:155]
	v_add_f64 v[144:145], v[14:15], v[144:145]
	v_fma_f64 v[182:183], v[138:139], s[30:31], v[186:187]
	v_add_f64 v[152:153], v[162:163], v[48:49]
	v_fma_f64 v[162:163], v[114:115], s[6:7], v[180:181]
	v_mul_f64 v[164:165], v[132:133], s[20:21]
	v_mul_f64 v[184:185], v[140:141], s[22:23]
	v_fma_f64 v[158:159], v[98:99], s[26:27], v[158:159]
	v_add_f64 v[148:149], v[12:13], v[148:149]
	v_add_f64 v[142:143], v[150:151], v[142:143]
	;; [unrolled: 1-line block ×3, first 2 shown]
	v_fma_f64 v[150:151], v[80:81], s[24:25], -v[160:161]
	v_add_f64 v[48:49], v[182:183], v[146:147]
	v_add_f64 v[146:147], v[162:163], v[152:153]
	v_fma_f64 v[152:153], v[136:137], s[22:23], v[164:165]
	v_fma_f64 v[154:155], v[138:139], s[36:37], v[184:185]
	v_add_f64 v[148:149], v[158:159], v[148:149]
	v_fma_f64 v[158:159], v[102:103], s[16:17], v[170:171]
	v_add_f64 v[74:75], v[46:47], v[74:75]
	v_mul_f64 v[160:161], v[92:93], s[50:51]
	v_add_f64 v[144:145], v[150:151], v[144:145]
	v_fma_f64 v[150:151], v[82:83], s[34:35], -v[172:173]
	v_add_f64 v[72:73], v[44:45], v[72:73]
	v_add_f64 v[46:47], v[152:153], v[142:143]
	;; [unrolled: 1-line block ×4, first 2 shown]
	v_fma_f64 v[146:147], v[100:101], s[42:43], v[174:175]
	v_add_f64 v[74:75], v[42:43], v[74:75]
	v_fma_f64 v[42:43], v[90:91], s[48:49], v[160:161]
	v_mul_f64 v[148:149], v[86:87], s[0:1]
	v_add_f64 v[144:145], v[150:151], v[144:145]
	v_fma_f64 v[150:151], v[94:95], s[4:5], -v[156:157]
	v_mul_f64 v[152:153], v[134:135], s[48:49]
	v_add_f64 v[72:73], v[40:41], v[72:73]
	v_add_f64 v[40:41], v[146:147], v[142:143]
	v_fma_f64 v[142:143], v[108:109], s[0:1], v[166:167]
	v_add_f64 v[42:43], v[14:15], v[42:43]
	v_fma_f64 v[146:147], v[78:79], s[4:5], v[148:149]
	v_mul_f64 v[154:155], v[88:89], s[44:45]
	v_add_f64 v[144:145], v[150:151], v[144:145]
	v_fma_f64 v[150:151], v[96:97], s[48:49], -v[168:169]
	v_fma_f64 v[156:157], v[130:131], s[52:53], v[152:153]
	v_mul_f64 v[158:159], v[118:119], s[4:5]
	v_add_f64 v[40:41], v[142:143], v[40:41]
	v_fma_f64 v[142:143], v[112:113], s[52:53], v[176:177]
	v_add_f64 v[42:43], v[146:147], v[42:43]
	v_fma_f64 v[146:147], v[80:81], s[38:39], v[154:155]
	v_mul_f64 v[162:163], v[84:85], s[6:7]
	v_add_f64 v[144:145], v[150:151], v[144:145]
	v_add_f64 v[150:151], v[12:13], v[156:157]
	v_fma_f64 v[156:157], v[98:99], s[18:19], v[158:159]
	v_mul_f64 v[166:167], v[122:123], s[38:39]
	v_fma_f64 v[168:169], v[104:105], s[12:13], -v[178:179]
	v_add_f64 v[40:41], v[142:143], v[40:41]
	v_add_f64 v[42:43], v[146:147], v[42:43]
	v_fma_f64 v[142:143], v[82:83], s[12:13], v[162:163]
	v_mul_f64 v[146:147], v[106:107], s[42:43]
	v_fma_f64 v[170:171], v[114:115], s[46:47], v[180:181]
	v_add_f64 v[150:151], v[156:157], v[150:151]
	v_fma_f64 v[156:157], v[102:103], s[28:29], v[166:167]
	v_mul_f64 v[172:173], v[120:121], s[12:13]
	v_add_f64 v[144:145], v[168:169], v[144:145]
	v_fma_f64 v[164:165], v[136:137], s[22:23], -v[164:165]
	v_add_f64 v[142:143], v[142:143], v[42:43]
	v_fma_f64 v[168:169], v[94:95], s[34:35], v[146:147]
	v_mul_f64 v[174:175], v[110:111], s[10:11]
	v_add_f64 v[40:41], v[170:171], v[40:41]
	v_add_f64 v[150:151], v[156:157], v[150:151]
	v_fma_f64 v[156:157], v[100:101], s[46:47], v[172:173]
	v_mul_f64 v[170:171], v[124:125], s[34:35]
	v_fma_f64 v[160:161], v[90:91], s[48:49], -v[160:161]
	v_fma_f64 v[176:177], v[138:139], s[20:21], v[184:185]
	v_add_f64 v[42:43], v[164:165], v[144:145]
	v_add_f64 v[142:143], v[168:169], v[142:143]
	v_fma_f64 v[144:145], v[96:97], s[14:15], v[174:175]
	v_mul_f64 v[164:165], v[116:117], s[36:37]
	v_add_f64 v[150:151], v[156:157], v[150:151]
	v_fma_f64 v[156:157], v[108:109], s[30:31], v[170:171]
	v_mul_f64 v[168:169], v[128:129], s[14:15]
	v_add_f64 v[74:75], v[38:39], v[74:75]
	v_fma_f64 v[38:39], v[78:79], s[4:5], -v[148:149]
	v_add_f64 v[148:149], v[14:15], v[160:161]
	v_add_f64 v[40:41], v[176:177], v[40:41]
	;; [unrolled: 1-line block ×3, first 2 shown]
	v_fma_f64 v[144:145], v[104:105], s[22:23], v[164:165]
	v_add_f64 v[150:151], v[156:157], v[150:151]
	v_fma_f64 v[152:153], v[130:131], s[50:51], v[152:153]
	v_fma_f64 v[156:157], v[112:113], s[26:27], v[168:169]
	v_mul_f64 v[160:161], v[126:127], s[22:23]
	v_mul_f64 v[176:177], v[132:133], s[16:17]
	v_add_f64 v[38:39], v[38:39], v[148:149]
	v_fma_f64 v[148:149], v[80:81], s[38:39], -v[154:155]
	v_add_f64 v[142:143], v[144:145], v[142:143]
	v_fma_f64 v[144:145], v[98:99], s[0:1], v[158:159]
	v_add_f64 v[152:153], v[12:13], v[152:153]
	v_add_f64 v[150:151], v[156:157], v[150:151]
	v_fma_f64 v[154:155], v[114:115], s[20:21], v[160:161]
	v_mul_f64 v[156:157], v[140:141], s[24:25]
	v_fma_f64 v[158:159], v[136:137], s[24:25], v[176:177]
	v_add_f64 v[148:149], v[148:149], v[38:39]
	v_fma_f64 v[162:163], v[82:83], s[12:13], -v[162:163]
	v_add_f64 v[72:73], v[36:37], v[72:73]
	v_add_f64 v[36:37], v[144:145], v[152:153]
	v_fma_f64 v[144:145], v[102:103], s[44:45], v[166:167]
	v_add_f64 v[150:151], v[154:155], v[150:151]
	v_fma_f64 v[152:153], v[138:139], s[40:41], v[156:157]
	v_mul_f64 v[154:155], v[92:93], s[42:43]
	v_add_f64 v[38:39], v[158:159], v[142:143]
	v_add_f64 v[142:143], v[162:163], v[148:149]
	v_fma_f64 v[146:147], v[94:95], s[34:35], -v[146:147]
	v_mul_f64 v[148:149], v[134:135], s[34:35]
	v_add_f64 v[144:145], v[144:145], v[36:37]
	v_fma_f64 v[158:159], v[100:101], s[6:7], v[172:173]
	v_add_f64 v[36:37], v[152:153], v[150:151]
	v_fma_f64 v[150:151], v[90:91], s[34:35], v[154:155]
	v_mul_f64 v[152:153], v[86:87], s[20:21]
	v_add_f64 v[74:75], v[34:35], v[74:75]
	v_add_f64 v[34:35], v[146:147], v[142:143]
	v_fma_f64 v[142:143], v[130:131], s[30:31], v[148:149]
	v_mul_f64 v[146:147], v[118:119], s[22:23]
	v_add_f64 v[144:145], v[158:159], v[144:145]
	v_fma_f64 v[158:159], v[108:109], s[42:43], v[170:171]
	v_add_f64 v[150:151], v[14:15], v[150:151]
	v_fma_f64 v[162:163], v[78:79], s[22:23], v[152:153]
	v_mul_f64 v[166:167], v[88:89], s[18:19]
	v_fma_f64 v[170:171], v[96:97], s[14:15], -v[174:175]
	v_add_f64 v[142:143], v[12:13], v[142:143]
	v_fma_f64 v[172:173], v[98:99], s[36:37], v[146:147]
	v_mul_f64 v[174:175], v[122:123], s[4:5]
	v_add_f64 v[144:145], v[158:159], v[144:145]
	v_fma_f64 v[158:159], v[112:113], s[10:11], v[168:169]
	v_add_f64 v[150:151], v[162:163], v[150:151]
	v_fma_f64 v[162:163], v[80:81], s[4:5], v[166:167]
	v_mul_f64 v[168:169], v[84:85], s[44:45]
	v_add_f64 v[34:35], v[170:171], v[34:35]
	v_add_f64 v[142:143], v[172:173], v[142:143]
	v_fma_f64 v[170:171], v[102:103], s[0:1], v[174:175]
	v_mul_f64 v[172:173], v[120:121], s[38:39]
	v_fma_f64 v[164:165], v[104:105], s[22:23], -v[164:165]
	v_add_f64 v[144:145], v[158:159], v[144:145]
	v_add_f64 v[150:151], v[162:163], v[150:151]
	v_fma_f64 v[158:159], v[82:83], s[38:39], v[168:169]
	v_mul_f64 v[162:163], v[106:107], s[16:17]
	v_fma_f64 v[160:161], v[114:115], s[36:37], v[160:161]
	v_add_f64 v[142:143], v[170:171], v[142:143]
	v_fma_f64 v[170:171], v[100:101], s[28:29], v[172:173]
	v_mul_f64 v[178:179], v[124:125], s[24:25]
	v_add_f64 v[72:73], v[32:33], v[72:73]
	v_add_f64 v[32:33], v[164:165], v[34:35]
	;; [unrolled: 1-line block ×3, first 2 shown]
	v_fma_f64 v[150:151], v[94:95], s[24:25], v[162:163]
	v_mul_f64 v[158:159], v[110:111], s[46:47]
	v_add_f64 v[144:145], v[160:161], v[144:145]
	v_add_f64 v[142:143], v[170:171], v[142:143]
	v_fma_f64 v[160:161], v[108:109], s[40:41], v[178:179]
	v_mul_f64 v[164:165], v[128:129], s[12:13]
	v_fma_f64 v[170:171], v[136:137], s[24:25], -v[176:177]
	v_fma_f64 v[156:157], v[138:139], s[16:17], v[156:157]
	v_fma_f64 v[154:155], v[90:91], s[34:35], -v[154:155]
	v_add_f64 v[150:151], v[150:151], v[34:35]
	v_fma_f64 v[176:177], v[96:97], s[12:13], v[158:159]
	v_mul_f64 v[180:181], v[116:117], s[50:51]
	v_add_f64 v[142:143], v[160:161], v[142:143]
	v_fma_f64 v[160:161], v[112:113], s[6:7], v[164:165]
	v_add_f64 v[34:35], v[170:171], v[32:33]
	v_mul_f64 v[170:171], v[126:127], s[48:49]
	v_add_f64 v[32:33], v[156:157], v[144:145]
	v_fma_f64 v[144:145], v[78:79], s[22:23], -v[152:153]
	v_add_f64 v[152:153], v[14:15], v[154:155]
	v_add_f64 v[150:151], v[176:177], v[150:151]
	v_fma_f64 v[154:155], v[104:105], s[48:49], v[180:181]
	v_add_f64 v[142:143], v[160:161], v[142:143]
	v_mul_f64 v[156:157], v[132:133], s[10:11]
	v_fma_f64 v[160:161], v[114:115], s[52:53], v[170:171]
	v_add_f64 v[74:75], v[30:31], v[74:75]
	v_mul_f64 v[176:177], v[140:141], s[14:15]
	v_add_f64 v[30:31], v[144:145], v[152:153]
	v_fma_f64 v[144:145], v[80:81], s[4:5], -v[166:167]
	v_add_f64 v[72:73], v[28:29], v[72:73]
	v_add_f64 v[28:29], v[154:155], v[150:151]
	v_fma_f64 v[150:151], v[136:137], s[14:15], v[156:157]
	v_add_f64 v[142:143], v[160:161], v[142:143]
	v_fma_f64 v[148:149], v[130:131], s[42:43], v[148:149]
	v_fma_f64 v[152:153], v[138:139], s[26:27], v[176:177]
	v_mul_f64 v[154:155], v[92:93], s[40:41]
	v_add_f64 v[144:145], v[144:145], v[30:31]
	v_fma_f64 v[160:161], v[82:83], s[38:39], -v[168:169]
	v_mul_f64 v[166:167], v[134:135], s[24:25]
	v_add_f64 v[30:31], v[150:151], v[28:29]
	v_fma_f64 v[146:147], v[98:99], s[20:21], v[146:147]
	v_add_f64 v[148:149], v[12:13], v[148:149]
	v_add_f64 v[28:29], v[152:153], v[142:143]
	v_fma_f64 v[142:143], v[90:91], s[24:25], v[154:155]
	v_mul_f64 v[150:151], v[86:87], s[50:51]
	v_add_f64 v[144:145], v[160:161], v[144:145]
	v_fma_f64 v[152:153], v[130:131], s[16:17], v[166:167]
	v_mul_f64 v[160:161], v[118:119], s[48:49]
	v_fma_f64 v[162:163], v[94:95], s[24:25], -v[162:163]
	v_add_f64 v[146:147], v[146:147], v[148:149]
	v_fma_f64 v[148:149], v[102:103], s[18:19], v[174:175]
	v_add_f64 v[142:143], v[14:15], v[142:143]
	v_fma_f64 v[168:169], v[78:79], s[48:49], v[150:151]
	v_mul_f64 v[174:175], v[88:89], s[20:21]
	v_add_f64 v[152:153], v[12:13], v[152:153]
	v_fma_f64 v[182:183], v[98:99], s[52:53], v[160:161]
	v_mul_f64 v[184:185], v[122:123], s[22:23]
	v_add_f64 v[144:145], v[162:163], v[144:145]
	v_add_f64 v[146:147], v[148:149], v[146:147]
	v_fma_f64 v[148:149], v[100:101], s[44:45], v[172:173]
	v_add_f64 v[142:143], v[168:169], v[142:143]
	v_fma_f64 v[162:163], v[80:81], s[22:23], v[174:175]
	v_mul_f64 v[168:169], v[84:85], s[0:1]
	v_add_f64 v[152:153], v[182:183], v[152:153]
	v_fma_f64 v[172:173], v[102:103], s[36:37], v[184:185]
	v_mul_f64 v[182:183], v[120:121], s[4:5]
	v_fma_f64 v[158:159], v[96:97], s[12:13], -v[158:159]
	v_add_f64 v[146:147], v[148:149], v[146:147]
	v_fma_f64 v[148:149], v[108:109], s[16:17], v[178:179]
	v_add_f64 v[142:143], v[162:163], v[142:143]
	v_fma_f64 v[162:163], v[82:83], s[4:5], v[168:169]
	v_mul_f64 v[178:179], v[106:107], s[26:27]
	v_add_f64 v[152:153], v[172:173], v[152:153]
	v_fma_f64 v[172:173], v[100:101], s[18:19], v[182:183]
	v_mul_f64 v[186:187], v[124:125], s[14:15]
	v_add_f64 v[144:145], v[158:159], v[144:145]
	v_add_f64 v[146:147], v[148:149], v[146:147]
	v_fma_f64 v[148:149], v[112:113], s[46:47], v[164:165]
	v_add_f64 v[142:143], v[162:163], v[142:143]
	v_fma_f64 v[158:159], v[94:95], s[14:15], v[178:179]
	v_mul_f64 v[162:163], v[110:111], s[44:45]
	v_add_f64 v[152:153], v[172:173], v[152:153]
	v_fma_f64 v[164:165], v[108:109], s[10:11], v[186:187]
	v_mul_f64 v[172:173], v[128:129], s[38:39]
	v_fma_f64 v[180:181], v[104:105], s[48:49], -v[180:181]
	v_add_f64 v[146:147], v[148:149], v[146:147]
	v_fma_f64 v[148:149], v[114:115], s[50:51], v[170:171]
	v_add_f64 v[142:143], v[158:159], v[142:143]
	v_fma_f64 v[158:159], v[96:97], s[38:39], v[162:163]
	v_mul_f64 v[170:171], v[116:117], s[30:31]
	v_add_f64 v[152:153], v[164:165], v[152:153]
	v_fma_f64 v[164:165], v[112:113], s[28:29], v[172:173]
	v_mul_f64 v[188:189], v[126:127], s[34:35]
	v_add_f64 v[74:75], v[26:27], v[74:75]
	v_add_f64 v[26:27], v[180:181], v[144:145]
	;; [unrolled: 1-line block ×3, first 2 shown]
	v_fma_f64 v[146:147], v[136:137], s[14:15], -v[156:157]
	v_add_f64 v[142:143], v[158:159], v[142:143]
	v_fma_f64 v[148:149], v[104:105], s[34:35], v[170:171]
	v_add_f64 v[152:153], v[164:165], v[152:153]
	v_fma_f64 v[156:157], v[114:115], s[42:43], v[188:189]
	v_mul_f64 v[158:159], v[132:133], s[6:7]
	v_mul_f64 v[164:165], v[140:141], s[12:13]
	v_fma_f64 v[176:177], v[138:139], s[10:11], v[176:177]
	v_fma_f64 v[154:155], v[90:91], s[24:25], -v[154:155]
	v_add_f64 v[72:73], v[24:25], v[72:73]
	v_add_f64 v[26:27], v[146:147], v[26:27]
	;; [unrolled: 1-line block ×4, first 2 shown]
	v_fma_f64 v[148:149], v[136:137], s[12:13], v[158:159]
	v_fma_f64 v[152:153], v[138:139], s[46:47], v[164:165]
	v_add_f64 v[24:25], v[176:177], v[144:145]
	v_add_f64 v[74:75], v[22:23], v[74:75]
	;; [unrolled: 1-line block ×3, first 2 shown]
	v_fma_f64 v[150:151], v[78:79], s[48:49], -v[150:151]
	v_fma_f64 v[154:155], v[130:131], s[40:41], v[166:167]
	v_add_f64 v[72:73], v[20:21], v[72:73]
	v_add_f64 v[22:23], v[148:149], v[142:143]
	;; [unrolled: 1-line block ×3, first 2 shown]
	v_mul_f64 v[92:93], v[92:93], s[46:47]
	v_add_f64 v[18:19], v[18:19], v[74:75]
	v_mul_f64 v[74:75], v[134:135], s[12:13]
	v_add_f64 v[134:135], v[150:151], v[144:145]
	v_fma_f64 v[142:143], v[80:81], s[22:23], -v[174:175]
	v_add_f64 v[144:145], v[12:13], v[154:155]
	v_fma_f64 v[146:147], v[98:99], s[50:51], v[160:161]
	v_add_f64 v[16:17], v[16:17], v[72:73]
	v_fma_f64 v[72:73], v[90:91], s[12:13], v[92:93]
	v_fma_f64 v[90:91], v[90:91], s[12:13], -v[92:93]
	v_mul_f64 v[86:87], v[86:87], s[40:41]
	v_fma_f64 v[92:93], v[130:131], s[6:7], v[74:75]
	v_add_f64 v[134:135], v[142:143], v[134:135]
	v_fma_f64 v[142:143], v[82:83], s[4:5], -v[168:169]
	v_add_f64 v[144:145], v[146:147], v[144:145]
	v_fma_f64 v[146:147], v[102:103], s[20:21], v[184:185]
	v_fma_f64 v[74:75], v[130:131], s[46:47], v[74:75]
	v_add_f64 v[72:73], v[14:15], v[72:73]
	v_fma_f64 v[130:131], v[78:79], s[24:25], v[86:87]
	v_add_f64 v[14:15], v[14:15], v[90:91]
	v_mul_f64 v[90:91], v[118:119], s[24:25]
	v_add_f64 v[134:135], v[142:143], v[134:135]
	v_fma_f64 v[142:143], v[94:95], s[14:15], -v[178:179]
	v_add_f64 v[144:145], v[146:147], v[144:145]
	v_fma_f64 v[146:147], v[100:101], s[0:1], v[182:183]
	v_add_f64 v[92:93], v[12:13], v[92:93]
	v_add_f64 v[72:73], v[130:131], v[72:73]
	v_mul_f64 v[122:123], v[122:123], s[34:35]
	v_mul_f64 v[120:121], v[120:121], s[48:49]
	;; [unrolled: 1-line block ×3, first 2 shown]
	v_add_f64 v[130:131], v[142:143], v[134:135]
	v_fma_f64 v[134:135], v[96:97], s[38:39], -v[162:163]
	v_add_f64 v[142:143], v[146:147], v[144:145]
	v_fma_f64 v[144:145], v[108:109], s[26:27], v[186:187]
	v_fma_f64 v[146:147], v[98:99], s[16:17], v[90:91]
	v_add_f64 v[12:13], v[12:13], v[74:75]
	v_mul_f64 v[124:125], v[124:125], s[38:39]
	v_fma_f64 v[78:79], v[78:79], s[24:25], -v[86:87]
	v_fma_f64 v[90:91], v[98:99], s[40:41], v[90:91]
	v_add_f64 v[130:131], v[134:135], v[130:131]
	v_fma_f64 v[134:135], v[104:105], s[34:35], -v[170:171]
	v_add_f64 v[142:143], v[144:145], v[142:143]
	v_add_f64 v[92:93], v[146:147], v[92:93]
	v_fma_f64 v[144:145], v[102:103], s[30:31], v[122:123]
	v_fma_f64 v[118:119], v[80:81], s[34:35], v[88:89]
	v_mul_f64 v[84:85], v[84:85], s[50:51]
	v_fma_f64 v[146:147], v[112:113], s[44:45], v[172:173]
	v_fma_f64 v[98:99], v[108:109], s[44:45], v[124:125]
	v_add_f64 v[74:75], v[134:135], v[130:131]
	v_fma_f64 v[130:131], v[100:101], s[52:53], v[120:121]
	v_mul_f64 v[128:129], v[128:129], s[22:23]
	v_add_f64 v[92:93], v[144:145], v[92:93]
	v_fma_f64 v[80:81], v[80:81], s[34:35], -v[88:89]
	v_add_f64 v[14:15], v[78:79], v[14:15]
	v_fma_f64 v[78:79], v[102:103], s[42:43], v[122:123]
	v_add_f64 v[12:13], v[90:91], v[12:13]
	v_add_f64 v[72:73], v[118:119], v[72:73]
	v_fma_f64 v[118:119], v[82:83], s[48:49], v[84:85]
	v_mul_f64 v[106:107], v[106:107], s[28:29]
	v_add_f64 v[92:93], v[130:131], v[92:93]
	v_add_f64 v[134:135], v[146:147], v[142:143]
	v_fma_f64 v[86:87], v[114:115], s[30:31], v[188:189]
	v_fma_f64 v[82:83], v[82:83], s[48:49], -v[84:85]
	v_add_f64 v[14:15], v[80:81], v[14:15]
	v_fma_f64 v[80:81], v[100:101], s[50:51], v[120:121]
	v_add_f64 v[12:13], v[78:79], v[12:13]
	v_mul_f64 v[110:111], v[110:111], s[20:21]
	v_add_f64 v[90:91], v[98:99], v[92:93]
	v_fma_f64 v[92:93], v[112:113], s[36:37], v[128:129]
	v_mul_f64 v[98:99], v[126:127], s[14:15]
	v_add_f64 v[84:85], v[86:87], v[134:135]
	v_add_f64 v[14:15], v[82:83], v[14:15]
	v_fma_f64 v[82:83], v[108:109], s[28:29], v[124:125]
	v_add_f64 v[12:13], v[80:81], v[12:13]
	v_add_f64 v[72:73], v[118:119], v[72:73]
	v_fma_f64 v[118:119], v[94:95], s[38:39], v[106:107]
	v_add_f64 v[86:87], v[92:93], v[90:91]
	v_fma_f64 v[90:91], v[114:115], s[26:27], v[98:99]
	v_fma_f64 v[92:93], v[94:95], s[38:39], -v[106:107]
	v_mul_f64 v[88:89], v[116:117], s[10:11]
	v_add_f64 v[10:11], v[10:11], v[18:19]
	v_add_f64 v[12:13], v[82:83], v[12:13]
	;; [unrolled: 1-line block ×4, first 2 shown]
	v_fma_f64 v[118:119], v[96:97], s[22:23], v[110:111]
	v_add_f64 v[86:87], v[90:91], v[86:87]
	v_fma_f64 v[90:91], v[96:97], s[22:23], -v[110:111]
	v_add_f64 v[14:15], v[92:93], v[14:15]
	v_fma_f64 v[92:93], v[112:113], s[20:21], v[128:129]
	v_mul_f64 v[82:83], v[132:133], s[0:1]
	v_mul_f64 v[94:95], v[140:141], s[4:5]
	v_fma_f64 v[16:17], v[104:105], s[14:15], -v[88:89]
	v_fma_f64 v[18:19], v[114:115], s[10:11], v[98:99]
	v_add_f64 v[72:73], v[118:119], v[72:73]
	v_fma_f64 v[78:79], v[104:105], s[14:15], v[88:89]
	v_add_f64 v[14:15], v[90:91], v[14:15]
	v_add_f64 v[12:13], v[92:93], v[12:13]
	;; [unrolled: 1-line block ×4, first 2 shown]
	v_fma_f64 v[88:89], v[136:137], s[4:5], v[82:83]
	v_fma_f64 v[82:83], v[136:137], s[4:5], -v[82:83]
	v_fma_f64 v[80:81], v[138:139], s[6:7], v[164:165]
	v_add_f64 v[72:73], v[78:79], v[72:73]
	v_add_f64 v[14:15], v[16:17], v[14:15]
	v_fma_f64 v[16:17], v[138:139], s[0:1], v[94:95]
	v_add_f64 v[12:13], v[18:19], v[12:13]
	v_fma_f64 v[78:79], v[136:137], s[12:13], -v[158:159]
	v_add_f64 v[6:7], v[6:7], v[92:93]
	v_add_f64 v[4:5], v[4:5], v[96:97]
	;; [unrolled: 1-line block ×3, first 2 shown]
	s_lshl_b64 s[0:1], s[2:3], 4
	v_add_f64 v[14:15], v[82:83], v[14:15]
	v_fma_f64 v[90:91], v[138:139], s[18:19], v[94:95]
	v_add_f64 v[12:13], v[16:17], v[12:13]
	v_add_f64 v[2:3], v[78:79], v[74:75]
	v_mov_b32_e32 v17, s9
	v_add_co_u32_e32 v16, vcc, s8, v76
	v_addc_co_u32_e32 v17, vcc, v17, v77, vcc
	global_store_dwordx4 v[16:17], v[4:7], off
	v_add_f64 v[10:11], v[88:89], v[72:73]
	v_mov_b32_e32 v5, s1
	v_add_co_u32_e32 v4, vcc, s0, v16
	v_mad_u64_u32 v[6:7], s[0:1], s2, 48, v[16:17]
	v_addc_co_u32_e32 v5, vcc, v17, v5, vcc
	s_lshl_b64 s[0:1], s[2:3], 5
	global_store_dwordx4 v[4:5], v[12:15], off
	v_mov_b32_e32 v4, v7
	v_mov_b32_e32 v13, s1
	v_add_co_u32_e32 v12, vcc, s0, v16
	v_mad_u64_u32 v[4:5], s[4:5], s3, 48, v[4:5]
	v_addc_co_u32_e32 v13, vcc, v17, v13, vcc
	global_store_dwordx4 v[12:13], v[0:3], off
	s_lshl_b64 s[0:1], s[2:3], 6
	v_mov_b32_e32 v0, 0x50
	v_mad_u64_u32 v[0:1], s[4:5], s2, v0, v[16:17]
	v_mov_b32_e32 v3, s1
	v_add_co_u32_e32 v2, vcc, s0, v16
	v_mov_b32_e32 v7, v4
	v_addc_co_u32_e32 v3, vcc, v17, v3, vcc
	global_store_dwordx4 v[6:7], v[24:27], off
	global_store_dwordx4 v[2:3], v[32:35], off
	v_mov_b32_e32 v2, 0x60
	v_add_u32_e32 v1, s62, v1
	v_mad_u64_u32 v[2:3], s[0:1], s2, v2, v[16:17]
	v_mov_b32_e32 v4, 0x70
	global_store_dwordx4 v[0:1], v[40:43], off
	v_mov_b32_e32 v0, 0x90
	v_mad_u64_u32 v[4:5], s[0:1], s2, v4, v[16:17]
	v_mad_u64_u32 v[0:1], s[4:5], s2, v0, v[16:17]
	v_add_u32_e32 v3, s60, v3
	s_lshl_b64 s[0:1], s[2:3], 7
	global_store_dwordx4 v[2:3], v[48:51], off
	v_mov_b32_e32 v3, s1
	v_add_co_u32_e32 v2, vcc, s0, v16
	v_add_u32_e32 v5, s61, v5
	v_addc_co_u32_e32 v3, vcc, v17, v3, vcc
	v_add_u32_e32 v1, s59, v1
	global_store_dwordx4 v[4:5], v[64:67], off
	global_store_dwordx4 v[2:3], v[60:63], off
	v_mov_b32_e32 v2, 0xa0
	v_mov_b32_e32 v4, 0xb0
	global_store_dwordx4 v[0:1], v[52:55], off
	v_mov_b32_e32 v0, 0xc0
	v_mad_u64_u32 v[2:3], s[0:1], s2, v2, v[16:17]
	v_mad_u64_u32 v[4:5], s[0:1], s2, v4, v[16:17]
	;; [unrolled: 1-line block ×3, first 2 shown]
	v_add_u32_e32 v3, s58, v3
	v_add_u32_e32 v5, s57, v5
	;; [unrolled: 1-line block ×3, first 2 shown]
	v_add_f64 v[8:9], v[90:91], v[86:87]
	global_store_dwordx4 v[2:3], v[68:71], off
	v_mov_b32_e32 v2, 0xd0
	global_store_dwordx4 v[4:5], v[56:59], off
	global_store_dwordx4 v[0:1], v[44:47], off
	v_mov_b32_e32 v0, 0xe0
	v_mad_u64_u32 v[2:3], s[0:1], s2, v2, v[16:17]
	v_mad_u64_u32 v[0:1], s[0:1], s2, v0, v[16:17]
	v_mov_b32_e32 v4, 0xf0
	v_mad_u64_u32 v[4:5], s[0:1], s2, v4, v[16:17]
	v_add_u32_e32 v3, s55, v3
	v_add_u32_e32 v1, s54, v1
	s_lshl_b64 s[0:1], s[2:3], 8
	global_store_dwordx4 v[2:3], v[36:39], off
	global_store_dwordx4 v[0:1], v[28:31], off
	v_mov_b32_e32 v1, s1
	v_add_co_u32_e32 v0, vcc, s0, v16
	v_add_u32_e32 v5, s33, v5
	v_addc_co_u32_e32 v1, vcc, v17, v1, vcc
	global_store_dwordx4 v[4:5], v[20:23], off
	global_store_dwordx4 v[0:1], v[8:11], off
	s_endpgm
	.section	.rodata,"a",@progbits
	.p2align	6, 0x0
	.amdhsa_kernel fft_rtc_back_len17_factors_17_wgs_120_tpt_1_dp_ip_CI_sbrr_dirReg
		.amdhsa_group_segment_fixed_size 0
		.amdhsa_private_segment_fixed_size 0
		.amdhsa_kernarg_size 88
		.amdhsa_user_sgpr_count 6
		.amdhsa_user_sgpr_private_segment_buffer 1
		.amdhsa_user_sgpr_dispatch_ptr 0
		.amdhsa_user_sgpr_queue_ptr 0
		.amdhsa_user_sgpr_kernarg_segment_ptr 1
		.amdhsa_user_sgpr_dispatch_id 0
		.amdhsa_user_sgpr_flat_scratch_init 0
		.amdhsa_user_sgpr_private_segment_size 0
		.amdhsa_uses_dynamic_stack 0
		.amdhsa_system_sgpr_private_segment_wavefront_offset 0
		.amdhsa_system_sgpr_workgroup_id_x 1
		.amdhsa_system_sgpr_workgroup_id_y 0
		.amdhsa_system_sgpr_workgroup_id_z 0
		.amdhsa_system_sgpr_workgroup_info 0
		.amdhsa_system_vgpr_workitem_id 0
		.amdhsa_next_free_vgpr 190
		.amdhsa_next_free_sgpr 63
		.amdhsa_reserve_vcc 1
		.amdhsa_reserve_flat_scratch 0
		.amdhsa_float_round_mode_32 0
		.amdhsa_float_round_mode_16_64 0
		.amdhsa_float_denorm_mode_32 3
		.amdhsa_float_denorm_mode_16_64 3
		.amdhsa_dx10_clamp 1
		.amdhsa_ieee_mode 1
		.amdhsa_fp16_overflow 0
		.amdhsa_exception_fp_ieee_invalid_op 0
		.amdhsa_exception_fp_denorm_src 0
		.amdhsa_exception_fp_ieee_div_zero 0
		.amdhsa_exception_fp_ieee_overflow 0
		.amdhsa_exception_fp_ieee_underflow 0
		.amdhsa_exception_fp_ieee_inexact 0
		.amdhsa_exception_int_div_zero 0
	.end_amdhsa_kernel
	.text
.Lfunc_end0:
	.size	fft_rtc_back_len17_factors_17_wgs_120_tpt_1_dp_ip_CI_sbrr_dirReg, .Lfunc_end0-fft_rtc_back_len17_factors_17_wgs_120_tpt_1_dp_ip_CI_sbrr_dirReg
                                        ; -- End function
	.section	.AMDGPU.csdata,"",@progbits
; Kernel info:
; codeLenInByte = 8148
; NumSgprs: 67
; NumVgprs: 190
; ScratchSize: 0
; MemoryBound: 1
; FloatMode: 240
; IeeeMode: 1
; LDSByteSize: 0 bytes/workgroup (compile time only)
; SGPRBlocks: 8
; VGPRBlocks: 47
; NumSGPRsForWavesPerEU: 67
; NumVGPRsForWavesPerEU: 190
; Occupancy: 1
; WaveLimiterHint : 1
; COMPUTE_PGM_RSRC2:SCRATCH_EN: 0
; COMPUTE_PGM_RSRC2:USER_SGPR: 6
; COMPUTE_PGM_RSRC2:TRAP_HANDLER: 0
; COMPUTE_PGM_RSRC2:TGID_X_EN: 1
; COMPUTE_PGM_RSRC2:TGID_Y_EN: 0
; COMPUTE_PGM_RSRC2:TGID_Z_EN: 0
; COMPUTE_PGM_RSRC2:TIDIG_COMP_CNT: 0
	.type	__hip_cuid_7d5667b52fd9718a,@object ; @__hip_cuid_7d5667b52fd9718a
	.section	.bss,"aw",@nobits
	.globl	__hip_cuid_7d5667b52fd9718a
__hip_cuid_7d5667b52fd9718a:
	.byte	0                               ; 0x0
	.size	__hip_cuid_7d5667b52fd9718a, 1

	.ident	"AMD clang version 19.0.0git (https://github.com/RadeonOpenCompute/llvm-project roc-6.4.0 25133 c7fe45cf4b819c5991fe208aaa96edf142730f1d)"
	.section	".note.GNU-stack","",@progbits
	.addrsig
	.addrsig_sym __hip_cuid_7d5667b52fd9718a
	.amdgpu_metadata
---
amdhsa.kernels:
  - .args:
      - .actual_access:  read_only
        .address_space:  global
        .offset:         0
        .size:           8
        .value_kind:     global_buffer
      - .offset:         8
        .size:           8
        .value_kind:     by_value
      - .actual_access:  read_only
        .address_space:  global
        .offset:         16
        .size:           8
        .value_kind:     global_buffer
      - .actual_access:  read_only
        .address_space:  global
        .offset:         24
        .size:           8
        .value_kind:     global_buffer
      - .offset:         32
        .size:           8
        .value_kind:     by_value
      - .actual_access:  read_only
        .address_space:  global
        .offset:         40
        .size:           8
        .value_kind:     global_buffer
      - .actual_access:  read_only
        .address_space:  global
        .offset:         48
        .size:           8
        .value_kind:     global_buffer
      - .offset:         56
        .size:           4
        .value_kind:     by_value
      - .actual_access:  read_only
        .address_space:  global
        .offset:         64
        .size:           8
        .value_kind:     global_buffer
      - .actual_access:  read_only
        .address_space:  global
        .offset:         72
        .size:           8
        .value_kind:     global_buffer
      - .address_space:  global
        .offset:         80
        .size:           8
        .value_kind:     global_buffer
    .group_segment_fixed_size: 0
    .kernarg_segment_align: 8
    .kernarg_segment_size: 88
    .language:       OpenCL C
    .language_version:
      - 2
      - 0
    .max_flat_workgroup_size: 120
    .name:           fft_rtc_back_len17_factors_17_wgs_120_tpt_1_dp_ip_CI_sbrr_dirReg
    .private_segment_fixed_size: 0
    .sgpr_count:     67
    .sgpr_spill_count: 0
    .symbol:         fft_rtc_back_len17_factors_17_wgs_120_tpt_1_dp_ip_CI_sbrr_dirReg.kd
    .uniform_work_group_size: 1
    .uses_dynamic_stack: false
    .vgpr_count:     190
    .vgpr_spill_count: 0
    .wavefront_size: 64
amdhsa.target:   amdgcn-amd-amdhsa--gfx906
amdhsa.version:
  - 1
  - 2
...

	.end_amdgpu_metadata
